;; amdgpu-corpus repo=ROCm/rocFFT kind=compiled arch=gfx906 opt=O3
	.text
	.amdgcn_target "amdgcn-amd-amdhsa--gfx906"
	.amdhsa_code_object_version 6
	.protected	fft_rtc_back_len80_factors_10_8_wgs_160_tpt_10_half_ip_CI_sbcc_twdbase6_3step_dirReg_intrinsicReadWrite ; -- Begin function fft_rtc_back_len80_factors_10_8_wgs_160_tpt_10_half_ip_CI_sbcc_twdbase6_3step_dirReg_intrinsicReadWrite
	.globl	fft_rtc_back_len80_factors_10_8_wgs_160_tpt_10_half_ip_CI_sbcc_twdbase6_3step_dirReg_intrinsicReadWrite
	.p2align	8
	.type	fft_rtc_back_len80_factors_10_8_wgs_160_tpt_10_half_ip_CI_sbcc_twdbase6_3step_dirReg_intrinsicReadWrite,@function
fft_rtc_back_len80_factors_10_8_wgs_160_tpt_10_half_ip_CI_sbcc_twdbase6_3step_dirReg_intrinsicReadWrite: ; @fft_rtc_back_len80_factors_10_8_wgs_160_tpt_10_half_ip_CI_sbcc_twdbase6_3step_dirReg_intrinsicReadWrite
; %bb.0:
	s_load_dwordx2 s[16:17], s[4:5], 0x58
	s_load_dwordx2 s[24:25], s[4:5], 0x0
	s_load_dwordx8 s[8:15], s[4:5], 0x8
	s_movk_i32 s0, 0xc0
	v_cmp_gt_u32_e32 vcc, s0, v0
	s_and_saveexec_b64 s[2:3], vcc
	s_cbranch_execz .LBB0_3
; %bb.1:
	v_add_co_u32_e32 v1, vcc, 0xffffff60, v0
	v_lshlrev_b32_e32 v5, 2, v0
	v_addc_co_u32_e64 v2, s[0:1], 0, -1, vcc
	s_waitcnt lgkmcnt(0)
	v_mov_b32_e32 v4, s9
	v_add_co_u32_e32 v3, vcc, s8, v5
	v_add_u32_e32 v5, 0, v5
	v_addc_co_u32_e32 v4, vcc, 0, v4, vcc
	v_add_u32_e32 v5, 0x1400, v5
	s_mov_b64 s[4:5], 0
.LBB0_2:                                ; =>This Inner Loop Header: Depth=1
	global_load_dword v6, v[3:4], off
	v_add_co_u32_e32 v1, vcc, 0xa0, v1
	v_addc_co_u32_e32 v2, vcc, 0, v2, vcc
	v_cmp_lt_u64_e64 s[0:1], 31, v[1:2]
	v_add_co_u32_e32 v3, vcc, 0x280, v3
	v_addc_co_u32_e32 v4, vcc, 0, v4, vcc
	s_or_b64 s[4:5], s[0:1], s[4:5]
	s_waitcnt vmcnt(0)
	ds_write_b32 v5, v6
	v_add_u32_e32 v5, 0x280, v5
	s_andn2_b64 exec, exec, s[4:5]
	s_cbranch_execnz .LBB0_2
.LBB0_3:
	s_or_b64 exec, exec, s[2:3]
	s_waitcnt lgkmcnt(0)
	s_load_dwordx2 s[8:9], s[12:13], 0x8
	s_mov_b32 s7, 0
	s_mov_b64 s[18:19], 0
	s_waitcnt lgkmcnt(0)
	s_add_u32 s0, s8, -1
	s_addc_u32 s1, s9, -1
	s_lshr_b64 s[0:1], s[0:1], 4
	s_add_u32 s2, s0, 1
	s_addc_u32 s3, s1, 0
	v_mov_b32_e32 v1, s2
	v_mov_b32_e32 v2, s3
	v_cmp_lt_u64_e32 vcc, s[6:7], v[1:2]
	s_cbranch_vccnz .LBB0_5
; %bb.4:
	v_cvt_f32_u32_e32 v1, s2
	s_sub_i32 s0, 0, s2
	s_mov_b32 s19, s7
	v_rcp_iflag_f32_e32 v1, v1
	v_mul_f32_e32 v1, 0x4f7ffffe, v1
	v_cvt_u32_f32_e32 v1, v1
	v_readfirstlane_b32 s1, v1
	s_mul_i32 s0, s0, s1
	s_mul_hi_u32 s0, s1, s0
	s_add_i32 s1, s1, s0
	s_mul_hi_u32 s0, s6, s1
	s_mul_i32 s4, s0, s2
	s_sub_i32 s4, s6, s4
	s_add_i32 s1, s0, 1
	s_sub_i32 s5, s4, s2
	s_cmp_ge_u32 s4, s2
	s_cselect_b32 s0, s1, s0
	s_cselect_b32 s4, s5, s4
	s_add_i32 s1, s0, 1
	s_cmp_ge_u32 s4, s2
	s_cselect_b32 s18, s1, s0
.LBB0_5:
	s_load_dwordx4 s[20:23], s[14:15], 0x0
	s_mul_i32 s0, s18, s3
	s_mul_hi_u32 s1, s18, s2
	s_add_i32 s1, s1, s0
	s_mul_i32 s0, s18, s2
	s_sub_u32 s0, s6, s0
	s_subb_u32 s1, 0, s1
	v_mov_b32_e32 v1, s0
	v_alignbit_b32 v1, s1, v1, 28
	s_waitcnt lgkmcnt(0)
	v_mul_lo_u32 v1, s22, v1
	s_lshl_b64 s[4:5], s[0:1], 4
	s_mul_hi_u32 s0, s22, s4
	s_mul_i32 s21, s22, s4
	v_add_u32_e32 v1, s0, v1
	s_mul_i32 s0, s23, s4
	v_add_u32_e32 v3, s0, v1
	v_cmp_lt_u64_e64 s[0:1], s[10:11], 3
	v_mov_b32_e32 v5, s21
	s_and_b64 vcc, exec, s[0:1]
	s_cbranch_vccnz .LBB0_12
; %bb.6:
	s_add_u32 s26, s14, 16
	s_addc_u32 s27, s15, 0
	s_add_u32 s12, s12, 16
	v_mov_b32_e32 v1, s10
	s_addc_u32 s13, s13, 0
	s_mov_b64 s[28:29], 2
	s_mov_b32 s30, 0
	v_mov_b32_e32 v2, s11
	s_branch .LBB0_8
.LBB0_7:                                ;   in Loop: Header=BB0_8 Depth=1
	s_mul_i32 s3, s34, s3
	s_mul_hi_u32 s21, s34, s2
	s_add_i32 s3, s21, s3
	s_mul_i32 s21, s35, s2
	s_add_i32 s3, s3, s21
	s_mul_i32 s21, s0, s35
	s_mul_hi_u32 s23, s0, s34
	s_load_dwordx2 s[36:37], s[26:27], 0x0
	s_add_i32 s21, s23, s21
	s_mul_i32 s23, s1, s34
	s_add_i32 s21, s21, s23
	s_mul_i32 s23, s0, s34
	s_sub_u32 s18, s18, s23
	s_subb_u32 s19, s19, s21
	s_waitcnt lgkmcnt(0)
	s_mul_i32 s19, s36, s19
	s_mul_hi_u32 s21, s36, s18
	s_add_i32 s19, s21, s19
	s_mul_i32 s21, s37, s18
	s_add_i32 s19, s19, s21
	s_mul_i32 s18, s36, s18
	s_add_u32 s28, s28, 1
	v_mov_b32_e32 v4, s19
	v_add_co_u32_e32 v5, vcc, s18, v5
	s_addc_u32 s29, s29, 0
	v_addc_co_u32_e32 v3, vcc, v4, v3, vcc
	s_add_u32 s26, s26, 8
	s_addc_u32 s27, s27, 0
	v_cmp_ge_u64_e32 vcc, s[28:29], v[1:2]
	s_add_u32 s12, s12, 8
	s_mul_i32 s2, s34, s2
	s_addc_u32 s13, s13, 0
	s_mov_b64 s[18:19], s[0:1]
	s_cbranch_vccnz .LBB0_13
.LBB0_8:                                ; =>This Inner Loop Header: Depth=1
	s_load_dwordx2 s[34:35], s[12:13], 0x0
	s_waitcnt lgkmcnt(0)
	s_or_b64 s[0:1], s[18:19], s[34:35]
	s_mov_b32 s31, s1
	s_cmp_lg_u64 s[30:31], 0
	s_cbranch_scc0 .LBB0_10
; %bb.9:                                ;   in Loop: Header=BB0_8 Depth=1
	v_cvt_f32_u32_e32 v4, s34
	v_cvt_f32_u32_e32 v6, s35
	s_sub_u32 s0, 0, s34
	s_subb_u32 s1, 0, s35
	v_mac_f32_e32 v4, 0x4f800000, v6
	v_rcp_f32_e32 v4, v4
	v_mul_f32_e32 v4, 0x5f7ffffc, v4
	v_mul_f32_e32 v6, 0x2f800000, v4
	v_trunc_f32_e32 v6, v6
	v_mac_f32_e32 v4, 0xcf800000, v6
	v_cvt_u32_f32_e32 v6, v6
	v_cvt_u32_f32_e32 v4, v4
	v_readfirstlane_b32 s21, v6
	v_readfirstlane_b32 s23, v4
	s_mul_i32 s31, s0, s21
	s_mul_hi_u32 s36, s0, s23
	s_mul_i32 s33, s1, s23
	s_add_i32 s31, s36, s31
	s_mul_i32 s37, s0, s23
	s_add_i32 s31, s31, s33
	s_mul_hi_u32 s33, s23, s31
	s_mul_i32 s36, s23, s31
	s_mul_hi_u32 s23, s23, s37
	s_add_u32 s23, s23, s36
	s_addc_u32 s33, 0, s33
	s_mul_hi_u32 s38, s21, s37
	s_mul_i32 s37, s21, s37
	s_add_u32 s23, s23, s37
	s_mul_hi_u32 s36, s21, s31
	s_addc_u32 s23, s33, s38
	s_addc_u32 s33, s36, 0
	s_mul_i32 s31, s21, s31
	s_add_u32 s23, s23, s31
	s_addc_u32 s31, 0, s33
	v_add_co_u32_e32 v4, vcc, s23, v4
	s_cmp_lg_u64 vcc, 0
	s_addc_u32 s21, s21, s31
	v_readfirstlane_b32 s31, v4
	s_mul_i32 s23, s0, s21
	s_mul_hi_u32 s33, s0, s31
	s_add_i32 s23, s33, s23
	s_mul_i32 s1, s1, s31
	s_add_i32 s23, s23, s1
	s_mul_i32 s0, s0, s31
	s_mul_hi_u32 s33, s21, s0
	s_mul_i32 s36, s21, s0
	s_mul_i32 s38, s31, s23
	s_mul_hi_u32 s0, s31, s0
	s_mul_hi_u32 s37, s31, s23
	s_add_u32 s0, s0, s38
	s_addc_u32 s31, 0, s37
	s_add_u32 s0, s0, s36
	s_mul_hi_u32 s1, s21, s23
	s_addc_u32 s0, s31, s33
	s_addc_u32 s1, s1, 0
	s_mul_i32 s23, s21, s23
	s_add_u32 s0, s0, s23
	s_addc_u32 s1, 0, s1
	v_add_co_u32_e32 v4, vcc, s0, v4
	s_cmp_lg_u64 vcc, 0
	s_addc_u32 s0, s21, s1
	v_readfirstlane_b32 s23, v4
	s_mul_i32 s21, s18, s0
	s_mul_hi_u32 s31, s18, s23
	s_mul_hi_u32 s1, s18, s0
	s_add_u32 s21, s31, s21
	s_addc_u32 s1, 0, s1
	s_mul_hi_u32 s33, s19, s23
	s_mul_i32 s23, s19, s23
	s_add_u32 s21, s21, s23
	s_mul_hi_u32 s31, s19, s0
	s_addc_u32 s1, s1, s33
	s_addc_u32 s21, s31, 0
	s_mul_i32 s0, s19, s0
	s_add_u32 s23, s1, s0
	s_addc_u32 s21, 0, s21
	s_mul_i32 s0, s34, s21
	s_mul_hi_u32 s1, s34, s23
	s_add_i32 s0, s1, s0
	s_mul_i32 s1, s35, s23
	s_add_i32 s31, s0, s1
	s_mul_i32 s1, s34, s23
	v_mov_b32_e32 v4, s1
	s_sub_i32 s0, s19, s31
	v_sub_co_u32_e32 v4, vcc, s18, v4
	s_cmp_lg_u64 vcc, 0
	s_subb_u32 s33, s0, s35
	v_subrev_co_u32_e64 v6, s[0:1], s34, v4
	s_cmp_lg_u64 s[0:1], 0
	s_subb_u32 s0, s33, 0
	s_cmp_ge_u32 s0, s35
	v_readfirstlane_b32 s33, v6
	s_cselect_b32 s1, -1, 0
	s_cmp_ge_u32 s33, s34
	s_cselect_b32 s33, -1, 0
	s_cmp_eq_u32 s0, s35
	s_cselect_b32 s0, s33, s1
	s_add_u32 s1, s23, 1
	s_addc_u32 s33, s21, 0
	s_add_u32 s36, s23, 2
	s_addc_u32 s37, s21, 0
	s_cmp_lg_u32 s0, 0
	s_cselect_b32 s0, s36, s1
	s_cselect_b32 s1, s37, s33
	s_cmp_lg_u64 vcc, 0
	s_subb_u32 s31, s19, s31
	s_cmp_ge_u32 s31, s35
	v_readfirstlane_b32 s36, v4
	s_cselect_b32 s33, -1, 0
	s_cmp_ge_u32 s36, s34
	s_cselect_b32 s36, -1, 0
	s_cmp_eq_u32 s31, s35
	s_cselect_b32 s31, s36, s33
	s_cmp_lg_u32 s31, 0
	s_cselect_b32 s1, s1, s21
	s_cselect_b32 s0, s0, s23
	s_cbranch_execnz .LBB0_7
	s_branch .LBB0_11
.LBB0_10:                               ;   in Loop: Header=BB0_8 Depth=1
                                        ; implicit-def: $sgpr0_sgpr1
.LBB0_11:                               ;   in Loop: Header=BB0_8 Depth=1
	v_cvt_f32_u32_e32 v4, s34
	s_sub_i32 s0, 0, s34
	v_rcp_iflag_f32_e32 v4, v4
	v_mul_f32_e32 v4, 0x4f7ffffe, v4
	v_cvt_u32_f32_e32 v4, v4
	v_readfirstlane_b32 s1, v4
	s_mul_i32 s0, s0, s1
	s_mul_hi_u32 s0, s1, s0
	s_add_i32 s1, s1, s0
	s_mul_hi_u32 s0, s18, s1
	s_mul_i32 s21, s0, s34
	s_sub_i32 s21, s18, s21
	s_add_i32 s1, s0, 1
	s_sub_i32 s23, s21, s34
	s_cmp_ge_u32 s21, s34
	s_cselect_b32 s0, s1, s0
	s_cselect_b32 s21, s23, s21
	s_add_i32 s1, s0, 1
	s_cmp_ge_u32 s21, s34
	s_cselect_b32 s0, s1, s0
	s_mov_b32 s1, s30
	s_branch .LBB0_7
.LBB0_12:
	v_mov_b32_e32 v1, s18
	v_mov_b32_e32 v2, s19
	s_branch .LBB0_15
.LBB0_13:
	v_mov_b32_e32 v1, s2
	v_mov_b32_e32 v2, s3
	v_cmp_lt_u64_e32 vcc, s[6:7], v[1:2]
	v_mov_b32_e32 v1, 0
	v_mov_b32_e32 v2, 0
	s_cbranch_vccnz .LBB0_15
; %bb.14:
	v_cvt_f32_u32_e32 v1, s2
	s_sub_i32 s0, 0, s2
	v_rcp_iflag_f32_e32 v1, v1
	v_mul_f32_e32 v1, 0x4f7ffffe, v1
	v_cvt_u32_f32_e32 v1, v1
	v_mul_lo_u32 v2, s0, v1
	v_mul_hi_u32 v2, v1, v2
	v_add_u32_e32 v1, v1, v2
	v_mul_hi_u32 v1, s6, v1
	v_mul_lo_u32 v2, v1, s2
	v_add_u32_e32 v3, 1, v1
	v_sub_u32_e32 v2, s6, v2
	v_subrev_u32_e32 v4, s2, v2
	v_cmp_le_u32_e32 vcc, s2, v2
	v_cndmask_b32_e32 v2, v2, v4, vcc
	v_cndmask_b32_e32 v1, v1, v3, vcc
	v_add_u32_e32 v3, 1, v1
	v_cmp_le_u32_e32 vcc, s2, v2
	v_cndmask_b32_e32 v1, v1, v3, vcc
.LBB0_15:
	s_lshl_b64 s[0:1], s[10:11], 3
	s_add_u32 s0, s14, s0
	s_addc_u32 s1, s15, s1
	s_load_dword s0, s[0:1], 0x0
	v_mov_b32_e32 v6, s8
	v_and_b32_e32 v16, 15, v0
	v_mov_b32_e32 v7, s9
	v_mov_b32_e32 v4, s5
	s_waitcnt lgkmcnt(0)
	v_mul_lo_u32 v1, s0, v1
	s_add_u32 s0, s4, 16
	s_addc_u32 s1, s5, 0
	v_cmp_le_u64_e32 vcc, s[0:1], v[6:7]
	v_add_u32_e32 v6, v1, v5
	v_mad_u64_u32 v[1:2], s[0:1], s22, v16, 0
	s_movk_i32 s0, 0x7f
	v_or_b32_e32 v3, s4, v16
	v_cmp_lt_u32_e64 s[4:5], s0, v0
	s_movk_i32 s0, 0x80
	v_lshrrev_b32_e32 v5, 4, v0
	v_cmp_gt_u32_e64 s[2:3], s0, v0
	v_cmp_gt_u64_e64 s[0:1], s[8:9], v[3:4]
	v_mul_lo_u32 v2, s20, v5
	v_cndmask_b32_e64 v7, 0, 1, s[2:3]
	v_cndmask_b32_e64 v4, 0, 1, s[0:1]
	s_or_b64 s[4:5], s[4:5], vcc
	v_cndmask_b32_e64 v4, v4, v7, s[4:5]
	v_and_b32_e32 v4, 1, v4
	v_add_lshl_u32 v7, v1, v2, 2
	v_lshlrev_b32_e32 v2, 2, v6
	v_cmp_eq_u32_e64 s[4:5], 1, v4
	v_add_u32_e32 v6, 8, v5
	v_cndmask_b32_e64 v4, -1, v7, s[4:5]
	v_mul_lo_u32 v6, s20, v6
	v_or_b32_e32 v7, 16, v5
	v_mul_lo_u32 v7, s20, v7
	v_add_u32_e32 v8, 24, v5
	v_mul_lo_u32 v8, s20, v8
	v_add_lshl_u32 v6, v1, v6, 2
	v_cndmask_b32_e64 v10, -1, v6, s[4:5]
	v_add_lshl_u32 v6, v1, v7, 2
	v_or_b32_e32 v7, 32, v5
	v_cndmask_b32_e64 v15, -1, v6, s[4:5]
	v_add_lshl_u32 v6, v1, v8, 2
	v_mul_lo_u32 v7, s20, v7
	v_add_u32_e32 v8, 40, v5
	v_mul_lo_u32 v8, s20, v8
	v_cndmask_b32_e64 v17, -1, v6, s[4:5]
	v_add_lshl_u32 v6, v1, v7, 2
	v_or_b32_e32 v7, 48, v5
	v_cndmask_b32_e64 v18, -1, v6, s[4:5]
	v_add_lshl_u32 v6, v1, v8, 2
	v_mul_lo_u32 v7, s20, v7
	v_add_u32_e32 v8, 56, v5
	v_mul_lo_u32 v8, s20, v8
	v_cndmask_b32_e64 v19, -1, v6, s[4:5]
	v_add_lshl_u32 v6, v1, v7, 2
	v_cndmask_b32_e64 v20, -1, v6, s[4:5]
	v_add_lshl_u32 v6, v1, v8, 2
	v_cndmask_b32_e64 v21, -1, v6, s[4:5]
	v_or_b32_e32 v6, 64, v5
	s_mov_b32 s19, 0x20000
	s_mov_b32 s18, -2
	v_readfirstlane_b32 s6, v2
	v_mul_lo_u32 v22, s20, v6
	v_add_u32_e32 v6, 0x48, v5
	v_mul_lo_u32 v23, s20, v6
	s_nop 1
	buffer_load_dword v6, v4, s[16:19], s6 offen
	buffer_load_dword v12, v10, s[16:19], s6 offen
	;; [unrolled: 1-line block ×8, first 2 shown]
	v_add_lshl_u32 v4, v1, v22, 2
	v_cndmask_b32_e64 v4, -1, v4, s[4:5]
	v_add_lshl_u32 v10, v1, v23, 2
	v_cndmask_b32_e64 v17, -1, v10, s[4:5]
	buffer_load_dword v10, v4, s[16:19], s6 offen
	buffer_load_dword v15, v17, s[16:19], s6 offen
	v_lshlrev_b32_e32 v4, 2, v16
	s_and_saveexec_b64 s[4:5], s[2:3]
	s_cbranch_execz .LBB0_17
; %bb.16:
	s_waitcnt vmcnt(5)
	v_sub_f16_sdwa v16, v7, v8 dst_sel:DWORD dst_unused:UNUSED_PAD src0_sel:WORD_1 src1_sel:WORD_1
	s_waitcnt vmcnt(1)
	v_sub_f16_sdwa v17, v10, v9 dst_sel:DWORD dst_unused:UNUSED_PAD src0_sel:WORD_1 src1_sel:WORD_1
	v_add_f16_e32 v16, v16, v17
	s_waitcnt vmcnt(0)
	v_sub_f16_e32 v17, v15, v14
	v_sub_f16_e32 v18, v11, v13
	v_add_f16_e32 v17, v18, v17
	v_add_f16_e32 v18, v13, v14
	v_sub_f16_sdwa v20, v11, v13 dst_sel:DWORD dst_unused:UNUSED_PAD src0_sel:WORD_1 src1_sel:WORD_1
	v_sub_f16_sdwa v21, v15, v14 dst_sel:DWORD dst_unused:UNUSED_PAD src0_sel:WORD_1 src1_sel:WORD_1
	v_sub_f16_e32 v22, v10, v9
	v_sub_f16_e32 v23, v7, v8
	s_mov_b32 s3, 0xbb9c
	v_fma_f16 v18, v18, -0.5, v12
	v_sub_f16_sdwa v19, v11, v15 dst_sel:DWORD dst_unused:UNUSED_PAD src0_sel:WORD_1 src1_sel:WORD_1
	v_add_f16_e32 v20, v20, v21
	v_add_f16_sdwa v21, v13, v14 dst_sel:DWORD dst_unused:UNUSED_PAD src0_sel:WORD_1 src1_sel:WORD_1
	v_add_f16_e32 v22, v23, v22
	v_lshrrev_b32_e32 v23, 16, v12
	s_mov_b32 s6, 0xb8b4
	s_movk_i32 s7, 0x3b9c
	v_fma_f16 v21, v21, -0.5, v23
	v_sub_f16_sdwa v24, v13, v14 dst_sel:DWORD dst_unused:UNUSED_PAD src0_sel:WORD_1 src1_sel:WORD_1
	v_fma_f16 v25, v19, s3, v18
	v_sub_f16_e32 v26, v11, v15
	s_movk_i32 s2, 0x34f2
	s_movk_i32 s8, 0x38b4
	v_fma_f16 v25, v24, s6, v25
	v_sub_f16_e32 v27, v13, v14
	v_fma_f16 v28, v26, s7, v21
	v_fma_f16 v25, v17, s2, v25
	;; [unrolled: 1-line block ×4, first 2 shown]
	s_movk_i32 s9, 0x3a79
	v_mul_f16_e32 v29, 0x38b4, v25
	v_fma_f16 v18, v19, s7, v18
	v_fma_f16 v29, v28, s9, v29
	v_mul_f16_e32 v28, 0xb8b4, v28
	v_fma_f16 v18, v24, s8, v18
	v_fma_f16 v25, v25, s9, v28
	v_add_f16_sdwa v28, v8, v9 dst_sel:DWORD dst_unused:UNUSED_PAD src0_sel:WORD_1 src1_sel:WORD_1
	v_lshrrev_b32_e32 v30, 16, v6
	v_fma_f16 v17, v17, s2, v18
	v_fma_f16 v18, v26, s3, v21
	v_fma_f16 v28, v28, -0.5, v30
	v_sub_f16_e32 v31, v7, v10
	v_fma_f16 v18, v27, s6, v18
	v_sub_f16_e32 v32, v8, v9
	v_fma_f16 v33, v31, s7, v28
	v_pk_add_f16 v41, v12, v11
	v_fma_f16 v28, v31, s3, v28
	v_fma_f16 v18, v20, s2, v18
	v_sub_f16_sdwa v20, v8, v7 dst_sel:DWORD dst_unused:UNUSED_PAD src0_sel:WORD_1 src1_sel:WORD_1
	v_sub_f16_sdwa v21, v9, v10 dst_sel:DWORD dst_unused:UNUSED_PAD src0_sel:WORD_1 src1_sel:WORD_1
	v_fma_f16 v33, v32, s8, v33
	v_pk_add_f16 v41, v41, v13
	v_fma_f16 v28, v32, s6, v28
	v_add_f16_e32 v20, v20, v21
	v_add_f16_sdwa v21, v7, v10 dst_sel:DWORD dst_unused:UNUSED_PAD src0_sel:WORD_1 src1_sel:WORD_1
	v_fma_f16 v33, v16, s2, v33
	v_pk_add_f16 v41, v41, v14
	v_fma_f16 v16, v16, s2, v28
	v_fma_f16 v21, v21, -0.5, v30
	v_sub_f16_e32 v28, v14, v15
	v_sub_f16_e32 v30, v13, v11
	v_sub_f16_sdwa v13, v13, v11 dst_sel:DWORD dst_unused:UNUSED_PAD src0_sel:WORD_1 src1_sel:WORD_1
	v_sub_f16_sdwa v14, v14, v15 dst_sel:DWORD dst_unused:UNUSED_PAD src0_sel:WORD_1 src1_sel:WORD_1
	v_pk_add_f16 v41, v41, v15
	v_add_f16_e32 v28, v30, v28
	v_add_f16_e32 v30, v11, v15
	;; [unrolled: 1-line block ×3, first 2 shown]
	v_add_f16_sdwa v11, v11, v15 dst_sel:DWORD dst_unused:UNUSED_PAD src0_sel:WORD_1 src1_sel:WORD_1
	v_fma_f16 v14, v32, s7, v21
	v_fma_f16 v15, v32, s3, v21
	v_fma_f16 v12, v30, -0.5, v12
	v_fma_f16 v14, v31, s6, v14
	v_fma_f16 v15, v31, s8, v15
	v_add_f16_e32 v34, v8, v9
	v_pk_add_f16 v40, v6, v7
	v_fma_f16 v14, v20, s2, v14
	v_fma_f16 v15, v20, s2, v15
	;; [unrolled: 1-line block ×3, first 2 shown]
	v_fma_f16 v34, v34, -0.5, v6
	v_sub_f16_sdwa v35, v7, v10 dst_sel:DWORD dst_unused:UNUSED_PAD src0_sel:WORD_1 src1_sel:WORD_1
	v_sub_f16_sdwa v36, v8, v9 dst_sel:DWORD dst_unused:UNUSED_PAD src0_sel:WORD_1 src1_sel:WORD_1
	v_pk_add_f16 v40, v40, v8
	v_fma_f16 v11, v11, -0.5, v23
	v_fma_f16 v12, v24, s7, v12
	v_fma_f16 v20, v19, s8, v20
	v_sub_f16_e32 v8, v8, v7
	v_add_f16_e32 v7, v7, v10
	v_fma_f16 v37, v35, s3, v34
	v_pk_add_f16 v40, v40, v9
	v_fma_f16 v12, v19, s6, v12
	v_fma_f16 v19, v28, s2, v20
	;; [unrolled: 1-line block ×5, first 2 shown]
	v_fma_f16 v6, v7, -0.5, v6
	v_fma_f16 v37, v36, s6, v37
	v_pk_add_f16 v40, v40, v10
	v_fma_f16 v20, v26, s6, v20
	v_fma_f16 v11, v26, s8, v11
	;; [unrolled: 1-line block ×3, first 2 shown]
	v_sub_f16_e32 v9, v9, v10
	v_fma_f16 v10, v36, s3, v6
	v_fma_f16 v6, v36, s7, v6
	;; [unrolled: 1-line block ×6, first 2 shown]
	s_mov_b32 s9, 0xba79
	v_mul_f16_e32 v22, 0xba79, v18
	v_mul_f16_e32 v18, 0xb8b4, v18
	v_add_f16_e32 v8, v8, v9
	v_fma_f16 v10, v35, s8, v10
	v_fma_f16 v6, v35, s6, v6
	v_add_f16_e32 v38, v33, v29
	v_add_f16_e32 v39, v37, v25
	v_fma_f16 v12, v28, s2, v12
	v_fma_f16 v22, v17, s8, v22
	v_fma_f16 v17, v17, s9, v18
	s_mov_b32 s9, 0xb4f2
	v_mul_f16_e32 v7, 0xb4f2, v20
	v_mul_f16_e32 v9, 0xbb9c, v20
	v_fma_f16 v10, v8, s2, v10
	v_fma_f16 v6, v8, s2, v6
	v_mul_f16_e32 v8, 0x34f2, v11
	v_mul_f16_e32 v11, 0xbb9c, v11
	v_pack_b32_f16 v38, v39, v38
	v_mul_u32_u24_e32 v39, 0xa0, v5
	v_fma_f16 v7, v19, s7, v7
	v_fma_f16 v9, v19, s9, v9
	;; [unrolled: 1-line block ×4, first 2 shown]
	v_lshlrev_b32_e32 v39, 2, v39
	v_sub_f16_e32 v19, v14, v7
	v_add_f16_e32 v7, v14, v7
	v_sub_f16_e32 v14, v15, v8
	v_add_f16_e32 v8, v15, v8
	;; [unrolled: 2-line block ×4, first 2 shown]
	v_add3_u32 v39, 0, v39, v4
	v_sub_f16_e32 v18, v16, v22
	v_add_f16_e32 v16, v16, v22
	v_sub_f16_e32 v15, v21, v17
	v_add_f16_e32 v17, v21, v17
	v_pack_b32_f16 v6, v6, v8
	v_pack_b32_f16 v7, v9, v7
	v_sub_f16_e32 v13, v33, v29
	v_sub_f16_e32 v12, v37, v25
	ds_write2_b32 v39, v6, v7 offset0:32 offset1:48
	v_pack_b32_f16 v6, v17, v16
	v_pk_add_f16 v7, v40, v41 neg_lo:[0,1] neg_hi:[0,1]
	ds_write2_b32 v39, v6, v7 offset0:64 offset1:80
	v_pack_b32_f16 v6, v12, v13
	v_pack_b32_f16 v7, v10, v14
	v_pk_add_f16 v42, v40, v41
	ds_write2_b32 v39, v6, v7 offset0:96 offset1:112
	v_pack_b32_f16 v6, v20, v19
	v_pack_b32_f16 v7, v15, v18
	ds_write2_b32 v39, v42, v38 offset1:16
	ds_write2_b32 v39, v6, v7 offset0:128 offset1:144
.LBB0_17:
	s_or_b64 exec, exec, s[4:5]
	s_mov_b32 s2, 0x1999999a
	s_waitcnt vmcnt(9)
	v_mul_hi_u32 v6, v5, s2
	s_waitcnt vmcnt(0) lgkmcnt(0)
	s_barrier
	v_mul_u32_u24_e32 v6, 10, v6
	v_sub_u32_e32 v19, v5, v6
	v_mul_u32_u24_e32 v6, 7, v19
	v_lshlrev_b32_e32 v13, 2, v6
	global_load_dwordx4 v[6:9], v13, s[24:25]
	global_load_dwordx3 v[10:12], v13, s[24:25] offset:16
	v_lshlrev_b32_e32 v5, 6, v5
	v_add3_u32 v13, 0, v5, v4
	ds_read2_b32 v[4:5], v13 offset1:160
	v_add_u32_e32 v15, 0x400, v13
	v_add_u32_e32 v17, 0xa00, v13
	ds_read_u16 v20, v13 offset:3842
	v_add_u32_e32 v13, 0xe00, v13
	ds_read2_b32 v[13:14], v13 offset0:64 offset1:224
	ds_read2_b32 v[15:16], v15 offset0:64 offset1:224
	ds_read2_b32 v[17:18], v17 offset1:160
	s_waitcnt lgkmcnt(4)
	v_lshrrev_b32_e32 v21, 16, v5
	v_lshrrev_b32_e32 v22, 16, v4
	s_waitcnt lgkmcnt(2)
	v_lshrrev_b32_e32 v23, 16, v14
	s_waitcnt lgkmcnt(1)
	v_lshrrev_b32_e32 v24, 16, v15
	v_lshrrev_b32_e32 v25, 16, v16
	s_waitcnt lgkmcnt(0)
	v_lshrrev_b32_e32 v26, 16, v17
	v_lshrrev_b32_e32 v27, 16, v18
	s_mov_b32 s2, 0xb9a8
	s_movk_i32 s3, 0x39a8
	s_or_b64 vcc, vcc, s[0:1]
	v_readfirstlane_b32 s0, v2
	s_waitcnt vmcnt(1)
	v_mul_f16_sdwa v28, v6, v21 dst_sel:DWORD dst_unused:UNUSED_PAD src0_sel:WORD_1 src1_sel:DWORD
	v_mul_f16_sdwa v30, v7, v24 dst_sel:DWORD dst_unused:UNUSED_PAD src0_sel:WORD_1 src1_sel:DWORD
	v_mul_f16_sdwa v31, v7, v15 dst_sel:DWORD dst_unused:UNUSED_PAD src0_sel:WORD_1 src1_sel:DWORD
	v_mul_f16_sdwa v32, v8, v25 dst_sel:DWORD dst_unused:UNUSED_PAD src0_sel:WORD_1 src1_sel:DWORD
	v_mul_f16_sdwa v33, v8, v16 dst_sel:DWORD dst_unused:UNUSED_PAD src0_sel:WORD_1 src1_sel:DWORD
	v_mul_f16_sdwa v34, v9, v26 dst_sel:DWORD dst_unused:UNUSED_PAD src0_sel:WORD_1 src1_sel:DWORD
	s_waitcnt vmcnt(0)
	v_mul_f16_sdwa v36, v10, v27 dst_sel:DWORD dst_unused:UNUSED_PAD src0_sel:WORD_1 src1_sel:DWORD
	v_mul_f16_sdwa v38, v20, v11 dst_sel:DWORD dst_unused:UNUSED_PAD src0_sel:DWORD src1_sel:WORD_1
	v_mul_f16_sdwa v39, v11, v13 dst_sel:DWORD dst_unused:UNUSED_PAD src0_sel:WORD_1 src1_sel:DWORD
	v_mul_f16_sdwa v40, v23, v12 dst_sel:DWORD dst_unused:UNUSED_PAD src0_sel:DWORD src1_sel:WORD_1
	v_mul_f16_sdwa v41, v14, v12 dst_sel:DWORD dst_unused:UNUSED_PAD src0_sel:DWORD src1_sel:WORD_1
	v_mul_f16_sdwa v29, v6, v5 dst_sel:DWORD dst_unused:UNUSED_PAD src0_sel:WORD_1 src1_sel:DWORD
	v_mul_f16_sdwa v35, v9, v17 dst_sel:DWORD dst_unused:UNUSED_PAD src0_sel:WORD_1 src1_sel:DWORD
	;; [unrolled: 1-line block ×3, first 2 shown]
	v_fma_f16 v5, v6, v5, v28
	v_fma_f16 v15, v7, v15, v30
	v_fma_f16 v7, v7, v24, -v31
	v_fma_f16 v16, v8, v16, v32
	v_fma_f16 v8, v8, v25, -v33
	v_fma_f16 v17, v9, v17, v34
	v_fma_f16 v18, v10, v18, v36
	v_fma_f16 v13, v11, v13, v38
	v_fma_f16 v11, v20, v11, -v39
	v_fma_f16 v14, v14, v12, v40
	v_fma_f16 v12, v23, v12, -v41
	v_fma_f16 v6, v6, v21, -v29
	;; [unrolled: 1-line block ×4, first 2 shown]
	v_sub_f16_e32 v17, v4, v17
	v_sub_f16_e32 v11, v7, v11
	;; [unrolled: 1-line block ×8, first 2 shown]
	v_fma_f16 v7, v7, 2.0, -v11
	v_fma_f16 v8, v8, 2.0, -v12
	v_add_f16_e32 v11, v17, v11
	v_add_f16_e32 v12, v18, v12
	v_fma_f16 v4, v4, 2.0, -v17
	v_fma_f16 v15, v15, 2.0, -v13
	;; [unrolled: 1-line block ×4, first 2 shown]
	v_sub_f16_e32 v13, v9, v13
	v_sub_f16_e32 v14, v10, v14
	v_fma_f16 v17, v17, 2.0, -v11
	v_fma_f16 v18, v18, 2.0, -v12
	;; [unrolled: 1-line block ×6, first 2 shown]
	v_fma_f16 v21, v18, s2, v17
	v_fma_f16 v22, v10, s2, v9
	;; [unrolled: 1-line block ×7, first 2 shown]
	v_mul_lo_u32 v21, v19, v3
	v_mul_lo_u32 v3, v3, 10
	v_fma_f16 v12, v12, s2, v22
	s_add_i32 s2, 0, 0x1400
	v_and_b32_e32 v22, 63, v21
	v_lshrrev_b32_e32 v23, 4, v21
	v_lshrrev_b32_e32 v24, 10, v21
	v_add_u32_e32 v21, v21, v3
	v_and_b32_e32 v25, 63, v21
	v_lshrrev_b32_e32 v26, 4, v21
	v_lshrrev_b32_e32 v27, 10, v21
	v_add_u32_e32 v21, v21, v3
	v_lshrrev_b32_e32 v29, 4, v21
	v_and_b32_e32 v23, 0xfc, v23
	v_and_b32_e32 v24, 0xfc, v24
	v_and_b32_e32 v26, 0xfc, v26
	v_and_b32_e32 v27, 0xfc, v27
	v_and_b32_e32 v28, 63, v21
	v_and_b32_e32 v29, 0xfc, v29
	v_lshl_add_u32 v22, v22, 2, 0
	v_add_u32_e32 v23, s2, v23
	v_add_u32_e32 v24, s2, v24
	v_lshl_add_u32 v25, v25, 2, 0
	v_add_u32_e32 v26, s2, v26
	v_add_u32_e32 v27, s2, v27
	v_lshl_add_u32 v28, v28, 2, 0
	v_add_u32_e32 v29, s2, v29
	ds_read_b32 v22, v22 offset:5120
	ds_read_b32 v23, v23 offset:256
	;; [unrolled: 1-line block ×8, first 2 shown]
	s_waitcnt lgkmcnt(7)
	v_lshrrev_b32_e32 v30, 16, v22
	v_sub_f16_e32 v7, v20, v7
	v_sub_f16_e32 v8, v6, v8
	s_waitcnt lgkmcnt(6)
	v_mul_f16_sdwa v31, v30, v23 dst_sel:DWORD dst_unused:UNUSED_PAD src0_sel:DWORD src1_sel:WORD_1
	v_sub_f16_e32 v15, v4, v15
	v_sub_f16_e32 v16, v5, v16
	v_fma_f16 v20, v20, 2.0, -v7
	v_fma_f16 v6, v6, 2.0, -v8
	v_fma_f16 v31, v22, v23, -v31
	v_mul_f16_sdwa v22, v22, v23 dst_sel:DWORD dst_unused:UNUSED_PAD src0_sel:DWORD src1_sel:WORD_1
	v_fma_f16 v4, v4, 2.0, -v15
	v_fma_f16 v5, v5, 2.0, -v16
	v_sub_f16_e32 v6, v20, v6
	v_fma_f16 v22, v30, v23, v22
	s_waitcnt lgkmcnt(5)
	v_mul_f16_sdwa v30, v31, v24 dst_sel:DWORD dst_unused:UNUSED_PAD src0_sel:DWORD src1_sel:WORD_1
	v_sub_f16_e32 v5, v4, v5
	v_fma_f16 v20, v20, 2.0, -v6
	v_mul_f16_sdwa v23, v22, v24 dst_sel:DWORD dst_unused:UNUSED_PAD src0_sel:DWORD src1_sel:WORD_1
	v_fma_f16 v22, v24, v22, v30
	v_fma_f16 v4, v4, 2.0, -v5
	v_fma_f16 v23, v24, v31, -v23
	v_mul_f16_e32 v24, v20, v22
	v_fma_f16 v24, v4, v23, v24
	v_mul_f16_e32 v4, v4, v22
	v_fma_f16 v4, v20, v23, -v4
	s_waitcnt lgkmcnt(4)
	v_lshrrev_b32_e32 v20, 16, v25
	s_waitcnt lgkmcnt(3)
	v_mul_f16_sdwa v23, v25, v26 dst_sel:DWORD dst_unused:UNUSED_PAD src0_sel:DWORD src1_sel:WORD_1
	v_mul_f16_sdwa v22, v20, v26 dst_sel:DWORD dst_unused:UNUSED_PAD src0_sel:DWORD src1_sel:WORD_1
	v_fma_f16 v20, v20, v26, v23
	v_fma_f16 v22, v25, v26, -v22
	s_waitcnt lgkmcnt(2)
	v_mul_f16_sdwa v23, v20, v27 dst_sel:DWORD dst_unused:UNUSED_PAD src0_sel:DWORD src1_sel:WORD_1
	v_fma_f16 v23, v27, v22, -v23
	v_mul_f16_sdwa v22, v22, v27 dst_sel:DWORD dst_unused:UNUSED_PAD src0_sel:DWORD src1_sel:WORD_1
	v_fma_f16 v9, v9, 2.0, -v18
	v_fma_f16 v20, v27, v20, v22
	v_fma_f16 v17, v17, 2.0, -v10
	v_mul_f16_e32 v22, v9, v20
	v_fma_f16 v22, v17, v23, v22
	v_mul_f16_e32 v17, v17, v20
	v_fma_f16 v9, v9, v23, -v17
	s_waitcnt lgkmcnt(1)
	v_lshrrev_b32_e32 v17, 16, v28
	s_waitcnt lgkmcnt(0)
	v_mul_f16_sdwa v23, v28, v29 dst_sel:DWORD dst_unused:UNUSED_PAD src0_sel:DWORD src1_sel:WORD_1
	v_mul_f16_sdwa v20, v17, v29 dst_sel:DWORD dst_unused:UNUSED_PAD src0_sel:DWORD src1_sel:WORD_1
	v_fma_f16 v17, v17, v29, v23
	v_lshrrev_b32_e32 v23, 10, v21
	v_add_u32_e32 v21, v21, v3
	v_and_b32_e32 v25, 63, v21
	v_lshrrev_b32_e32 v26, 4, v21
	v_lshrrev_b32_e32 v27, 10, v21
	v_add_u32_e32 v21, v21, v3
	v_fma_f16 v20, v28, v29, -v20
	v_and_b32_e32 v28, 63, v21
	v_lshrrev_b32_e32 v29, 4, v21
	v_lshrrev_b32_e32 v30, 10, v21
	v_add_u32_e32 v21, v21, v3
	v_and_b32_e32 v23, 0xfc, v23
	v_and_b32_e32 v26, 0xfc, v26
	;; [unrolled: 1-line block ×6, first 2 shown]
	v_add_u32_e32 v23, s2, v23
	v_lshl_add_u32 v25, v25, 2, 0
	v_add_u32_e32 v26, s2, v26
	v_add_u32_e32 v27, s2, v27
	v_lshl_add_u32 v28, v28, 2, 0
	v_add_u32_e32 v29, s2, v29
	v_add_u32_e32 v30, s2, v30
	v_lshl_add_u32 v31, v31, 2, 0
	ds_read_b32 v23, v23 offset:512
	ds_read_b32 v25, v25 offset:5120
	ds_read_b32 v26, v26 offset:256
	ds_read_b32 v27, v27 offset:512
	ds_read_b32 v28, v28 offset:5120
	ds_read_b32 v29, v29 offset:256
	ds_read_b32 v30, v30 offset:512
	ds_read_b32 v31, v31 offset:5120
	s_waitcnt lgkmcnt(7)
	v_mul_f16_sdwa v32, v17, v23 dst_sel:DWORD dst_unused:UNUSED_PAD src0_sel:DWORD src1_sel:WORD_1
	v_sub_f16_e32 v16, v7, v16
	v_fma_f16 v32, v23, v20, -v32
	v_mul_f16_sdwa v20, v20, v23 dst_sel:DWORD dst_unused:UNUSED_PAD src0_sel:DWORD src1_sel:WORD_1
	v_add_f16_e32 v8, v15, v8
	v_fma_f16 v7, v7, 2.0, -v16
	v_fma_f16 v17, v23, v17, v20
	v_fma_f16 v15, v15, 2.0, -v8
	v_mul_f16_e32 v20, v7, v17
	v_fma_f16 v20, v15, v32, v20
	v_mul_f16_e32 v15, v15, v17
	v_fma_f16 v7, v7, v32, -v15
	s_waitcnt lgkmcnt(6)
	v_lshrrev_b32_e32 v15, 16, v25
	s_waitcnt lgkmcnt(5)
	v_mul_f16_sdwa v23, v25, v26 dst_sel:DWORD dst_unused:UNUSED_PAD src0_sel:DWORD src1_sel:WORD_1
	v_mul_f16_sdwa v17, v15, v26 dst_sel:DWORD dst_unused:UNUSED_PAD src0_sel:DWORD src1_sel:WORD_1
	v_fma_f16 v15, v15, v26, v23
	v_fma_f16 v17, v25, v26, -v17
	s_waitcnt lgkmcnt(4)
	v_mul_f16_sdwa v23, v15, v27 dst_sel:DWORD dst_unused:UNUSED_PAD src0_sel:DWORD src1_sel:WORD_1
	v_fma_f16 v23, v27, v17, -v23
	v_mul_f16_sdwa v17, v17, v27 dst_sel:DWORD dst_unused:UNUSED_PAD src0_sel:DWORD src1_sel:WORD_1
	v_fma_f16 v13, v13, 2.0, -v12
	v_fma_f16 v15, v27, v15, v17
	v_fma_f16 v11, v11, 2.0, -v14
	v_mul_f16_e32 v17, v13, v15
	v_fma_f16 v17, v11, v23, v17
	v_mul_f16_e32 v11, v11, v15
	v_fma_f16 v11, v13, v23, -v11
	s_waitcnt lgkmcnt(3)
	v_lshrrev_b32_e32 v13, 16, v28
	s_waitcnt lgkmcnt(2)
	v_mul_f16_sdwa v23, v28, v29 dst_sel:DWORD dst_unused:UNUSED_PAD src0_sel:DWORD src1_sel:WORD_1
	v_mul_f16_sdwa v15, v13, v29 dst_sel:DWORD dst_unused:UNUSED_PAD src0_sel:DWORD src1_sel:WORD_1
	v_fma_f16 v13, v13, v29, v23
	v_fma_f16 v15, v28, v29, -v15
	s_waitcnt lgkmcnt(1)
	v_mul_f16_sdwa v23, v13, v30 dst_sel:DWORD dst_unused:UNUSED_PAD src0_sel:DWORD src1_sel:WORD_1
	v_fma_f16 v23, v30, v15, -v23
	v_mul_f16_sdwa v15, v15, v30 dst_sel:DWORD dst_unused:UNUSED_PAD src0_sel:DWORD src1_sel:WORD_1
	v_fma_f16 v13, v30, v13, v15
	v_mul_f16_e32 v15, v6, v13
	v_fma_f16 v15, v5, v23, v15
	v_mul_f16_e32 v5, v5, v13
	v_fma_f16 v5, v6, v23, -v5
	v_lshrrev_b32_e32 v13, 4, v21
	v_lshrrev_b32_e32 v23, 10, v21
	v_add_u32_e32 v21, v21, v3
	v_add_u32_e32 v3, v21, v3
	v_and_b32_e32 v25, 63, v21
	v_lshrrev_b32_e32 v26, 4, v21
	v_lshrrev_b32_e32 v27, 10, v21
	v_and_b32_e32 v21, 63, v3
	v_lshrrev_b32_e32 v28, 4, v3
	v_lshrrev_b32_e32 v3, 10, v3
	v_and_b32_e32 v13, 0xfc, v13
	v_and_b32_e32 v23, 0xfc, v23
	;; [unrolled: 1-line block ×6, first 2 shown]
	v_add_u32_e32 v13, s2, v13
	v_add_u32_e32 v23, s2, v23
	v_lshl_add_u32 v25, v25, 2, 0
	v_add_u32_e32 v26, s2, v26
	v_add_u32_e32 v27, s2, v27
	v_lshl_add_u32 v21, v21, 2, 0
	v_add_u32_e32 v28, s2, v28
	v_add_u32_e32 v3, s2, v3
	s_waitcnt lgkmcnt(0)
	v_lshrrev_b32_e32 v6, 16, v31
	ds_read_b32 v13, v13 offset:256
	ds_read_b32 v23, v23 offset:512
	ds_read_b32 v25, v25 offset:5120
	ds_read_b32 v26, v26 offset:256
	ds_read_b32 v27, v27 offset:512
	ds_read_b32 v21, v21 offset:5120
	ds_read_b32 v28, v28 offset:256
	ds_read_b32 v3, v3 offset:512
	s_waitcnt lgkmcnt(7)
	v_mul_f16_sdwa v30, v31, v13 dst_sel:DWORD dst_unused:UNUSED_PAD src0_sel:DWORD src1_sel:WORD_1
	v_mul_f16_sdwa v29, v6, v13 dst_sel:DWORD dst_unused:UNUSED_PAD src0_sel:DWORD src1_sel:WORD_1
	v_fma_f16 v6, v6, v13, v30
	v_fma_f16 v29, v31, v13, -v29
	s_waitcnt lgkmcnt(6)
	v_mul_f16_sdwa v13, v6, v23 dst_sel:DWORD dst_unused:UNUSED_PAD src0_sel:DWORD src1_sel:WORD_1
	v_fma_f16 v13, v23, v29, -v13
	v_mul_f16_sdwa v29, v29, v23 dst_sel:DWORD dst_unused:UNUSED_PAD src0_sel:DWORD src1_sel:WORD_1
	v_fma_f16 v6, v23, v6, v29
	v_mul_f16_e32 v23, v18, v6
	v_mul_f16_e32 v6, v10, v6
	v_fma_f16 v23, v10, v13, v23
	v_fma_f16 v6, v18, v13, -v6
	s_waitcnt lgkmcnt(5)
	v_lshrrev_b32_e32 v10, 16, v25
	s_waitcnt lgkmcnt(4)
	v_mul_f16_sdwa v18, v25, v26 dst_sel:DWORD dst_unused:UNUSED_PAD src0_sel:DWORD src1_sel:WORD_1
	v_mul_f16_sdwa v13, v10, v26 dst_sel:DWORD dst_unused:UNUSED_PAD src0_sel:DWORD src1_sel:WORD_1
	v_fma_f16 v10, v10, v26, v18
	v_fma_f16 v13, v25, v26, -v13
	s_waitcnt lgkmcnt(3)
	v_mul_f16_sdwa v18, v10, v27 dst_sel:DWORD dst_unused:UNUSED_PAD src0_sel:DWORD src1_sel:WORD_1
	v_fma_f16 v18, v27, v13, -v18
	v_mul_f16_sdwa v13, v13, v27 dst_sel:DWORD dst_unused:UNUSED_PAD src0_sel:DWORD src1_sel:WORD_1
	v_fma_f16 v10, v27, v10, v13
	v_mul_f16_e32 v13, v16, v10
	v_fma_f16 v13, v8, v18, v13
	v_mul_f16_e32 v8, v8, v10
	s_mov_b32 s2, 0x199999a
	v_fma_f16 v8, v16, v18, -v8
	s_waitcnt lgkmcnt(2)
	v_lshrrev_b32_e32 v10, 16, v21
	s_waitcnt lgkmcnt(1)
	v_mul_f16_sdwa v18, v21, v28 dst_sel:DWORD dst_unused:UNUSED_PAD src0_sel:DWORD src1_sel:WORD_1
	v_mul_hi_u32 v0, v0, s2
	v_mul_f16_sdwa v16, v10, v28 dst_sel:DWORD dst_unused:UNUSED_PAD src0_sel:DWORD src1_sel:WORD_1
	v_fma_f16 v10, v10, v28, v18
	v_fma_f16 v16, v21, v28, -v16
	s_waitcnt lgkmcnt(0)
	v_mul_f16_sdwa v18, v10, v3 dst_sel:DWORD dst_unused:UNUSED_PAD src0_sel:DWORD src1_sel:WORD_1
	v_fma_f16 v18, v3, v16, -v18
	v_mul_f16_sdwa v16, v16, v3 dst_sel:DWORD dst_unused:UNUSED_PAD src0_sel:DWORD src1_sel:WORD_1
	v_fma_f16 v3, v3, v10, v16
	v_mul_u32_u24_e32 v0, 0x50, v0
	v_mul_f16_e32 v10, v12, v3
	v_or_b32_e32 v0, v0, v19
	v_fma_f16 v10, v14, v18, v10
	v_mul_f16_e32 v3, v14, v3
	v_mul_lo_u32 v14, s20, v0
	v_add_u32_e32 v2, 10, v0
	v_mul_lo_u32 v2, s20, v2
	v_fma_f16 v3, v12, v18, -v3
	v_lshlrev_b32_e32 v4, 16, v4
	v_add_lshl_u32 v12, v1, v14, 2
	v_or_b32_sdwa v4, v4, v24 dst_sel:DWORD dst_unused:UNUSED_PAD src0_sel:DWORD src1_sel:WORD_0
	v_cndmask_b32_e32 v12, -1, v12, vcc
	buffer_store_dword v4, v12, s[16:19], s0 offen
	v_lshlrev_b32_e32 v4, 16, v9
	v_add_lshl_u32 v2, v1, v2, 2
	v_add_u32_e32 v9, 20, v0
	v_or_b32_sdwa v4, v4, v22 dst_sel:DWORD dst_unused:UNUSED_PAD src0_sel:DWORD src1_sel:WORD_0
	v_cndmask_b32_e32 v2, -1, v2, vcc
	v_mul_lo_u32 v9, s20, v9
	buffer_store_dword v4, v2, s[16:19], s0 offen
	v_lshlrev_b32_e32 v2, 16, v7
	v_add_u32_e32 v7, 30, v0
	v_mul_lo_u32 v7, s20, v7
	v_add_lshl_u32 v4, v1, v9, 2
	v_or_b32_sdwa v2, v2, v20 dst_sel:DWORD dst_unused:UNUSED_PAD src0_sel:DWORD src1_sel:WORD_0
	v_cndmask_b32_e32 v4, -1, v4, vcc
	buffer_store_dword v2, v4, s[16:19], s0 offen
	v_lshlrev_b32_e32 v2, 16, v11
	v_add_lshl_u32 v4, v1, v7, 2
	v_add_u32_e32 v7, 40, v0
	v_or_b32_sdwa v2, v2, v17 dst_sel:DWORD dst_unused:UNUSED_PAD src0_sel:DWORD src1_sel:WORD_0
	v_cndmask_b32_e32 v4, -1, v4, vcc
	v_mul_lo_u32 v7, s20, v7
	buffer_store_dword v2, v4, s[16:19], s0 offen
	v_lshlrev_b32_e32 v2, 16, v5
	v_add_u32_e32 v5, 50, v0
	v_mul_lo_u32 v5, s20, v5
	v_add_lshl_u32 v4, v1, v7, 2
	v_or_b32_sdwa v2, v2, v15 dst_sel:DWORD dst_unused:UNUSED_PAD src0_sel:DWORD src1_sel:WORD_0
	v_cndmask_b32_e32 v4, -1, v4, vcc
	buffer_store_dword v2, v4, s[16:19], s0 offen
	v_add_lshl_u32 v4, v1, v5, 2
	v_add_u32_e32 v5, 60, v0
	v_mul_lo_u32 v5, s20, v5
	v_add_u32_e32 v0, 0x46, v0
	v_lshlrev_b32_e32 v2, 16, v6
	v_mul_lo_u32 v0, s20, v0
	v_or_b32_sdwa v2, v2, v23 dst_sel:DWORD dst_unused:UNUSED_PAD src0_sel:DWORD src1_sel:WORD_0
	v_cndmask_b32_e32 v4, -1, v4, vcc
	buffer_store_dword v2, v4, s[16:19], s0 offen
	v_lshlrev_b32_e32 v2, 16, v8
	v_add_lshl_u32 v4, v1, v5, 2
	v_or_b32_sdwa v2, v2, v13 dst_sel:DWORD dst_unused:UNUSED_PAD src0_sel:DWORD src1_sel:WORD_0
	v_cndmask_b32_e32 v4, -1, v4, vcc
	buffer_store_dword v2, v4, s[16:19], s0 offen
	v_lshlrev_b32_e32 v2, 16, v3
	v_add_lshl_u32 v0, v1, v0, 2
	v_or_b32_sdwa v2, v2, v10 dst_sel:DWORD dst_unused:UNUSED_PAD src0_sel:DWORD src1_sel:WORD_0
	v_cndmask_b32_e32 v0, -1, v0, vcc
	buffer_store_dword v2, v0, s[16:19], s0 offen
	s_endpgm
	.section	.rodata,"a",@progbits
	.p2align	6, 0x0
	.amdhsa_kernel fft_rtc_back_len80_factors_10_8_wgs_160_tpt_10_half_ip_CI_sbcc_twdbase6_3step_dirReg_intrinsicReadWrite
		.amdhsa_group_segment_fixed_size 0
		.amdhsa_private_segment_fixed_size 0
		.amdhsa_kernarg_size 96
		.amdhsa_user_sgpr_count 6
		.amdhsa_user_sgpr_private_segment_buffer 1
		.amdhsa_user_sgpr_dispatch_ptr 0
		.amdhsa_user_sgpr_queue_ptr 0
		.amdhsa_user_sgpr_kernarg_segment_ptr 1
		.amdhsa_user_sgpr_dispatch_id 0
		.amdhsa_user_sgpr_flat_scratch_init 0
		.amdhsa_user_sgpr_private_segment_size 0
		.amdhsa_uses_dynamic_stack 0
		.amdhsa_system_sgpr_private_segment_wavefront_offset 0
		.amdhsa_system_sgpr_workgroup_id_x 1
		.amdhsa_system_sgpr_workgroup_id_y 0
		.amdhsa_system_sgpr_workgroup_id_z 0
		.amdhsa_system_sgpr_workgroup_info 0
		.amdhsa_system_vgpr_workitem_id 0
		.amdhsa_next_free_vgpr 43
		.amdhsa_next_free_sgpr 39
		.amdhsa_reserve_vcc 1
		.amdhsa_reserve_flat_scratch 0
		.amdhsa_float_round_mode_32 0
		.amdhsa_float_round_mode_16_64 0
		.amdhsa_float_denorm_mode_32 3
		.amdhsa_float_denorm_mode_16_64 3
		.amdhsa_dx10_clamp 1
		.amdhsa_ieee_mode 1
		.amdhsa_fp16_overflow 0
		.amdhsa_exception_fp_ieee_invalid_op 0
		.amdhsa_exception_fp_denorm_src 0
		.amdhsa_exception_fp_ieee_div_zero 0
		.amdhsa_exception_fp_ieee_overflow 0
		.amdhsa_exception_fp_ieee_underflow 0
		.amdhsa_exception_fp_ieee_inexact 0
		.amdhsa_exception_int_div_zero 0
	.end_amdhsa_kernel
	.text
.Lfunc_end0:
	.size	fft_rtc_back_len80_factors_10_8_wgs_160_tpt_10_half_ip_CI_sbcc_twdbase6_3step_dirReg_intrinsicReadWrite, .Lfunc_end0-fft_rtc_back_len80_factors_10_8_wgs_160_tpt_10_half_ip_CI_sbcc_twdbase6_3step_dirReg_intrinsicReadWrite
                                        ; -- End function
	.section	.AMDGPU.csdata,"",@progbits
; Kernel info:
; codeLenInByte = 5604
; NumSgprs: 43
; NumVgprs: 43
; ScratchSize: 0
; MemoryBound: 0
; FloatMode: 240
; IeeeMode: 1
; LDSByteSize: 0 bytes/workgroup (compile time only)
; SGPRBlocks: 5
; VGPRBlocks: 10
; NumSGPRsForWavesPerEU: 43
; NumVGPRsForWavesPerEU: 43
; Occupancy: 5
; WaveLimiterHint : 0
; COMPUTE_PGM_RSRC2:SCRATCH_EN: 0
; COMPUTE_PGM_RSRC2:USER_SGPR: 6
; COMPUTE_PGM_RSRC2:TRAP_HANDLER: 0
; COMPUTE_PGM_RSRC2:TGID_X_EN: 1
; COMPUTE_PGM_RSRC2:TGID_Y_EN: 0
; COMPUTE_PGM_RSRC2:TGID_Z_EN: 0
; COMPUTE_PGM_RSRC2:TIDIG_COMP_CNT: 0
	.type	__hip_cuid_a43db5d7eef291a6,@object ; @__hip_cuid_a43db5d7eef291a6
	.section	.bss,"aw",@nobits
	.globl	__hip_cuid_a43db5d7eef291a6
__hip_cuid_a43db5d7eef291a6:
	.byte	0                               ; 0x0
	.size	__hip_cuid_a43db5d7eef291a6, 1

	.ident	"AMD clang version 19.0.0git (https://github.com/RadeonOpenCompute/llvm-project roc-6.4.0 25133 c7fe45cf4b819c5991fe208aaa96edf142730f1d)"
	.section	".note.GNU-stack","",@progbits
	.addrsig
	.addrsig_sym __hip_cuid_a43db5d7eef291a6
	.amdgpu_metadata
---
amdhsa.kernels:
  - .args:
      - .actual_access:  read_only
        .address_space:  global
        .offset:         0
        .size:           8
        .value_kind:     global_buffer
      - .address_space:  global
        .offset:         8
        .size:           8
        .value_kind:     global_buffer
      - .offset:         16
        .size:           8
        .value_kind:     by_value
      - .actual_access:  read_only
        .address_space:  global
        .offset:         24
        .size:           8
        .value_kind:     global_buffer
      - .actual_access:  read_only
        .address_space:  global
        .offset:         32
        .size:           8
        .value_kind:     global_buffer
      - .offset:         40
        .size:           8
        .value_kind:     by_value
      - .actual_access:  read_only
        .address_space:  global
        .offset:         48
        .size:           8
        .value_kind:     global_buffer
      - .actual_access:  read_only
        .address_space:  global
        .offset:         56
        .size:           8
        .value_kind:     global_buffer
      - .offset:         64
        .size:           4
        .value_kind:     by_value
      - .actual_access:  read_only
        .address_space:  global
        .offset:         72
        .size:           8
        .value_kind:     global_buffer
      - .actual_access:  read_only
        .address_space:  global
        .offset:         80
        .size:           8
        .value_kind:     global_buffer
      - .address_space:  global
        .offset:         88
        .size:           8
        .value_kind:     global_buffer
    .group_segment_fixed_size: 0
    .kernarg_segment_align: 8
    .kernarg_segment_size: 96
    .language:       OpenCL C
    .language_version:
      - 2
      - 0
    .max_flat_workgroup_size: 160
    .name:           fft_rtc_back_len80_factors_10_8_wgs_160_tpt_10_half_ip_CI_sbcc_twdbase6_3step_dirReg_intrinsicReadWrite
    .private_segment_fixed_size: 0
    .sgpr_count:     43
    .sgpr_spill_count: 0
    .symbol:         fft_rtc_back_len80_factors_10_8_wgs_160_tpt_10_half_ip_CI_sbcc_twdbase6_3step_dirReg_intrinsicReadWrite.kd
    .uniform_work_group_size: 1
    .uses_dynamic_stack: false
    .vgpr_count:     43
    .vgpr_spill_count: 0
    .wavefront_size: 64
amdhsa.target:   amdgcn-amd-amdhsa--gfx906
amdhsa.version:
  - 1
  - 2
...

	.end_amdgpu_metadata
